;; amdgpu-corpus repo=ROCm/rocFFT kind=compiled arch=gfx1030 opt=O3
	.text
	.amdgcn_target "amdgcn-amd-amdhsa--gfx1030"
	.amdhsa_code_object_version 6
	.protected	fft_rtc_back_len784_factors_2_2_2_2_7_7_wgs_56_tpt_56_halfLds_dp_ip_CI_unitstride_sbrr_R2C_dirReg ; -- Begin function fft_rtc_back_len784_factors_2_2_2_2_7_7_wgs_56_tpt_56_halfLds_dp_ip_CI_unitstride_sbrr_R2C_dirReg
	.globl	fft_rtc_back_len784_factors_2_2_2_2_7_7_wgs_56_tpt_56_halfLds_dp_ip_CI_unitstride_sbrr_R2C_dirReg
	.p2align	8
	.type	fft_rtc_back_len784_factors_2_2_2_2_7_7_wgs_56_tpt_56_halfLds_dp_ip_CI_unitstride_sbrr_R2C_dirReg,@function
fft_rtc_back_len784_factors_2_2_2_2_7_7_wgs_56_tpt_56_halfLds_dp_ip_CI_unitstride_sbrr_R2C_dirReg: ; @fft_rtc_back_len784_factors_2_2_2_2_7_7_wgs_56_tpt_56_halfLds_dp_ip_CI_unitstride_sbrr_R2C_dirReg
; %bb.0:
	s_clause 0x2
	s_load_dwordx4 s[8:11], s[4:5], 0x0
	s_load_dwordx2 s[2:3], s[4:5], 0x50
	s_load_dwordx2 s[12:13], s[4:5], 0x18
	v_mul_u32_u24_e32 v1, 0x493, v0
	v_mov_b32_e32 v3, 0
	v_add_nc_u32_sdwa v5, s6, v1 dst_sel:DWORD dst_unused:UNUSED_PAD src0_sel:DWORD src1_sel:WORD_1
	v_mov_b32_e32 v1, 0
	v_mov_b32_e32 v6, v3
	v_mov_b32_e32 v2, 0
	s_waitcnt lgkmcnt(0)
	v_cmp_lt_u64_e64 s0, s[10:11], 2
	s_and_b32 vcc_lo, exec_lo, s0
	s_cbranch_vccnz .LBB0_8
; %bb.1:
	s_load_dwordx2 s[0:1], s[4:5], 0x10
	v_mov_b32_e32 v1, 0
	s_add_u32 s6, s12, 8
	v_mov_b32_e32 v2, 0
	s_addc_u32 s7, s13, 0
	s_mov_b64 s[16:17], 1
	s_waitcnt lgkmcnt(0)
	s_add_u32 s14, s0, 8
	s_addc_u32 s15, s1, 0
.LBB0_2:                                ; =>This Inner Loop Header: Depth=1
	s_load_dwordx2 s[18:19], s[14:15], 0x0
                                        ; implicit-def: $vgpr7_vgpr8
	s_mov_b32 s0, exec_lo
	s_waitcnt lgkmcnt(0)
	v_or_b32_e32 v4, s19, v6
	v_cmpx_ne_u64_e32 0, v[3:4]
	s_xor_b32 s1, exec_lo, s0
	s_cbranch_execz .LBB0_4
; %bb.3:                                ;   in Loop: Header=BB0_2 Depth=1
	v_cvt_f32_u32_e32 v4, s18
	v_cvt_f32_u32_e32 v7, s19
	s_sub_u32 s0, 0, s18
	s_subb_u32 s20, 0, s19
	v_fmac_f32_e32 v4, 0x4f800000, v7
	v_rcp_f32_e32 v4, v4
	v_mul_f32_e32 v4, 0x5f7ffffc, v4
	v_mul_f32_e32 v7, 0x2f800000, v4
	v_trunc_f32_e32 v7, v7
	v_fmac_f32_e32 v4, 0xcf800000, v7
	v_cvt_u32_f32_e32 v7, v7
	v_cvt_u32_f32_e32 v4, v4
	v_mul_lo_u32 v8, s0, v7
	v_mul_hi_u32 v9, s0, v4
	v_mul_lo_u32 v10, s20, v4
	v_add_nc_u32_e32 v8, v9, v8
	v_mul_lo_u32 v9, s0, v4
	v_add_nc_u32_e32 v8, v8, v10
	v_mul_hi_u32 v10, v4, v9
	v_mul_lo_u32 v11, v4, v8
	v_mul_hi_u32 v12, v4, v8
	v_mul_hi_u32 v13, v7, v9
	v_mul_lo_u32 v9, v7, v9
	v_mul_hi_u32 v14, v7, v8
	v_mul_lo_u32 v8, v7, v8
	v_add_co_u32 v10, vcc_lo, v10, v11
	v_add_co_ci_u32_e32 v11, vcc_lo, 0, v12, vcc_lo
	v_add_co_u32 v9, vcc_lo, v10, v9
	v_add_co_ci_u32_e32 v9, vcc_lo, v11, v13, vcc_lo
	v_add_co_ci_u32_e32 v10, vcc_lo, 0, v14, vcc_lo
	v_add_co_u32 v8, vcc_lo, v9, v8
	v_add_co_ci_u32_e32 v9, vcc_lo, 0, v10, vcc_lo
	v_add_co_u32 v4, vcc_lo, v4, v8
	v_add_co_ci_u32_e32 v7, vcc_lo, v7, v9, vcc_lo
	v_mul_hi_u32 v8, s0, v4
	v_mul_lo_u32 v10, s20, v4
	v_mul_lo_u32 v9, s0, v7
	v_add_nc_u32_e32 v8, v8, v9
	v_mul_lo_u32 v9, s0, v4
	v_add_nc_u32_e32 v8, v8, v10
	v_mul_hi_u32 v10, v4, v9
	v_mul_lo_u32 v11, v4, v8
	v_mul_hi_u32 v12, v4, v8
	v_mul_hi_u32 v13, v7, v9
	v_mul_lo_u32 v9, v7, v9
	v_mul_hi_u32 v14, v7, v8
	v_mul_lo_u32 v8, v7, v8
	v_add_co_u32 v10, vcc_lo, v10, v11
	v_add_co_ci_u32_e32 v11, vcc_lo, 0, v12, vcc_lo
	v_add_co_u32 v9, vcc_lo, v10, v9
	v_add_co_ci_u32_e32 v9, vcc_lo, v11, v13, vcc_lo
	v_add_co_ci_u32_e32 v10, vcc_lo, 0, v14, vcc_lo
	v_add_co_u32 v8, vcc_lo, v9, v8
	v_add_co_ci_u32_e32 v9, vcc_lo, 0, v10, vcc_lo
	v_add_co_u32 v4, vcc_lo, v4, v8
	v_add_co_ci_u32_e32 v11, vcc_lo, v7, v9, vcc_lo
	v_mul_hi_u32 v13, v5, v4
	v_mad_u64_u32 v[9:10], null, v6, v4, 0
	v_mad_u64_u32 v[7:8], null, v5, v11, 0
	;; [unrolled: 1-line block ×3, first 2 shown]
	v_add_co_u32 v4, vcc_lo, v13, v7
	v_add_co_ci_u32_e32 v7, vcc_lo, 0, v8, vcc_lo
	v_add_co_u32 v4, vcc_lo, v4, v9
	v_add_co_ci_u32_e32 v4, vcc_lo, v7, v10, vcc_lo
	v_add_co_ci_u32_e32 v7, vcc_lo, 0, v12, vcc_lo
	v_add_co_u32 v4, vcc_lo, v4, v11
	v_add_co_ci_u32_e32 v9, vcc_lo, 0, v7, vcc_lo
	v_mul_lo_u32 v10, s19, v4
	v_mad_u64_u32 v[7:8], null, s18, v4, 0
	v_mul_lo_u32 v11, s18, v9
	v_sub_co_u32 v7, vcc_lo, v5, v7
	v_add3_u32 v8, v8, v11, v10
	v_sub_nc_u32_e32 v10, v6, v8
	v_subrev_co_ci_u32_e64 v10, s0, s19, v10, vcc_lo
	v_add_co_u32 v11, s0, v4, 2
	v_add_co_ci_u32_e64 v12, s0, 0, v9, s0
	v_sub_co_u32 v13, s0, v7, s18
	v_sub_co_ci_u32_e32 v8, vcc_lo, v6, v8, vcc_lo
	v_subrev_co_ci_u32_e64 v10, s0, 0, v10, s0
	v_cmp_le_u32_e32 vcc_lo, s18, v13
	v_cmp_eq_u32_e64 s0, s19, v8
	v_cndmask_b32_e64 v13, 0, -1, vcc_lo
	v_cmp_le_u32_e32 vcc_lo, s19, v10
	v_cndmask_b32_e64 v14, 0, -1, vcc_lo
	v_cmp_le_u32_e32 vcc_lo, s18, v7
	;; [unrolled: 2-line block ×3, first 2 shown]
	v_cndmask_b32_e64 v15, 0, -1, vcc_lo
	v_cmp_eq_u32_e32 vcc_lo, s19, v10
	v_cndmask_b32_e64 v7, v15, v7, s0
	v_cndmask_b32_e32 v10, v14, v13, vcc_lo
	v_add_co_u32 v13, vcc_lo, v4, 1
	v_add_co_ci_u32_e32 v14, vcc_lo, 0, v9, vcc_lo
	v_cmp_ne_u32_e32 vcc_lo, 0, v10
	v_cndmask_b32_e32 v8, v14, v12, vcc_lo
	v_cndmask_b32_e32 v10, v13, v11, vcc_lo
	v_cmp_ne_u32_e32 vcc_lo, 0, v7
	v_cndmask_b32_e32 v8, v9, v8, vcc_lo
	v_cndmask_b32_e32 v7, v4, v10, vcc_lo
.LBB0_4:                                ;   in Loop: Header=BB0_2 Depth=1
	s_andn2_saveexec_b32 s0, s1
	s_cbranch_execz .LBB0_6
; %bb.5:                                ;   in Loop: Header=BB0_2 Depth=1
	v_cvt_f32_u32_e32 v4, s18
	s_sub_i32 s1, 0, s18
	v_rcp_iflag_f32_e32 v4, v4
	v_mul_f32_e32 v4, 0x4f7ffffe, v4
	v_cvt_u32_f32_e32 v4, v4
	v_mul_lo_u32 v7, s1, v4
	v_mul_hi_u32 v7, v4, v7
	v_add_nc_u32_e32 v4, v4, v7
	v_mul_hi_u32 v4, v5, v4
	v_mul_lo_u32 v7, v4, s18
	v_add_nc_u32_e32 v8, 1, v4
	v_sub_nc_u32_e32 v7, v5, v7
	v_subrev_nc_u32_e32 v9, s18, v7
	v_cmp_le_u32_e32 vcc_lo, s18, v7
	v_cndmask_b32_e32 v7, v7, v9, vcc_lo
	v_cndmask_b32_e32 v4, v4, v8, vcc_lo
	v_cmp_le_u32_e32 vcc_lo, s18, v7
	v_add_nc_u32_e32 v8, 1, v4
	v_cndmask_b32_e32 v7, v4, v8, vcc_lo
	v_mov_b32_e32 v8, v3
.LBB0_6:                                ;   in Loop: Header=BB0_2 Depth=1
	s_or_b32 exec_lo, exec_lo, s0
	s_load_dwordx2 s[0:1], s[6:7], 0x0
	v_mul_lo_u32 v4, v8, s18
	v_mul_lo_u32 v11, v7, s19
	v_mad_u64_u32 v[9:10], null, v7, s18, 0
	s_add_u32 s16, s16, 1
	s_addc_u32 s17, s17, 0
	s_add_u32 s6, s6, 8
	s_addc_u32 s7, s7, 0
	;; [unrolled: 2-line block ×3, first 2 shown]
	v_add3_u32 v4, v10, v11, v4
	v_sub_co_u32 v5, vcc_lo, v5, v9
	v_sub_co_ci_u32_e32 v4, vcc_lo, v6, v4, vcc_lo
	s_waitcnt lgkmcnt(0)
	v_mul_lo_u32 v6, s1, v5
	v_mul_lo_u32 v4, s0, v4
	v_mad_u64_u32 v[1:2], null, s0, v5, v[1:2]
	v_cmp_ge_u64_e64 s0, s[16:17], s[10:11]
	s_and_b32 vcc_lo, exec_lo, s0
	v_add3_u32 v2, v6, v2, v4
	s_cbranch_vccnz .LBB0_9
; %bb.7:                                ;   in Loop: Header=BB0_2 Depth=1
	v_mov_b32_e32 v5, v7
	v_mov_b32_e32 v6, v8
	s_branch .LBB0_2
.LBB0_8:
	v_mov_b32_e32 v8, v6
	v_mov_b32_e32 v7, v5
.LBB0_9:
	s_lshl_b64 s[0:1], s[10:11], 3
	v_mul_hi_u32 v3, 0x4924925, v0
	s_add_u32 s0, s12, s0
	s_addc_u32 s1, s13, s1
	s_load_dwordx2 s[4:5], s[4:5], 0x20
	s_load_dwordx2 s[0:1], s[0:1], 0x0
	v_mul_u32_u24_e32 v3, 56, v3
	v_sub_nc_u32_e32 v24, v0, v3
	v_add_nc_u32_e32 v26, 56, v24
	v_add_nc_u32_e32 v36, 0x70, v24
	;; [unrolled: 1-line block ×5, first 2 shown]
	s_waitcnt lgkmcnt(0)
	v_cmp_gt_u64_e32 vcc_lo, s[4:5], v[7:8]
	v_mul_lo_u32 v3, s0, v8
	v_mul_lo_u32 v4, s1, v7
	v_mad_u64_u32 v[0:1], null, s0, v7, v[1:2]
	v_cmp_le_u64_e64 s0, s[4:5], v[7:8]
	v_add_nc_u32_e32 v32, 0x150, v24
	v_add3_u32 v1, v4, v1, v3
	s_and_saveexec_b32 s1, s0
	s_xor_b32 s0, exec_lo, s1
; %bb.10:
	v_add_nc_u32_e32 v26, 56, v24
	v_add_nc_u32_e32 v36, 0x70, v24
	;; [unrolled: 1-line block ×6, first 2 shown]
; %bb.11:
	s_or_saveexec_b32 s1, s0
	v_lshlrev_b64 v[30:31], 4, v[0:1]
	v_or_b32_e32 v28, 0x1c0, v24
	s_xor_b32 exec_lo, exec_lo, s1
	s_cbranch_execz .LBB0_13
; %bb.12:
	v_mov_b32_e32 v25, 0
	v_add_co_u32 v12, s0, s2, v30
	v_add_co_ci_u32_e64 v13, s0, s3, v31, s0
	v_lshlrev_b64 v[0:1], 4, v[24:25]
	v_mov_b32_e32 v29, v25
	v_lshl_add_u32 v25, v24, 4, 0
	v_lshlrev_b64 v[10:11], 4, v[28:29]
	v_add_co_u32 v8, s0, v12, v0
	v_add_co_ci_u32_e64 v9, s0, v13, v1, s0
	s_clause 0x1
	global_load_dwordx4 v[0:3], v[8:9], off
	global_load_dwordx4 v[4:7], v[8:9], off offset:896
	v_add_co_u32 v16, s0, 0x800, v8
	v_add_co_ci_u32_e64 v17, s0, 0, v9, s0
	v_add_co_u32 v37, s0, 0x1000, v8
	v_add_co_ci_u32_e64 v38, s0, 0, v9, s0
	;; [unrolled: 2-line block ×6, first 2 shown]
	s_clause 0xb
	global_load_dwordx4 v[8:11], v[8:9], off offset:1792
	global_load_dwordx4 v[12:15], v[16:17], off offset:640
	;; [unrolled: 1-line block ×6, first 2 shown]
	global_load_dwordx4 v[45:48], v[45:46], off
	global_load_dwordx4 v[49:52], v[49:50], off offset:1920
	global_load_dwordx4 v[53:56], v[57:58], off offset:768
	;; [unrolled: 1-line block ×5, first 2 shown]
	s_waitcnt vmcnt(13)
	ds_write_b128 v25, v[0:3]
	s_waitcnt vmcnt(12)
	ds_write_b128 v25, v[4:7] offset:896
	s_waitcnt vmcnt(11)
	ds_write_b128 v25, v[8:11] offset:1792
	;; [unrolled: 2-line block ×13, first 2 shown]
.LBB0_13:
	s_or_b32 exec_lo, exec_lo, s1
	v_lshlrev_b32_e32 v25, 4, v24
	s_waitcnt lgkmcnt(0)
	s_barrier
	buffer_gl0_inv
	v_and_b32_e32 v9, 1, v24
	v_add_nc_u32_e32 v65, 0, v25
	v_lshl_add_u32 v29, v35, 5, 0
	v_lshlrev_b32_e32 v27, 4, v26
	s_mov_b32 s18, 0xe976ee23
	v_lshlrev_b32_e32 v22, 4, v9
	ds_read_b128 v[0:3], v65 offset:6272
	ds_read_b128 v[4:7], v65
	ds_read_b128 v[10:13], v65 offset:896
	ds_read_b128 v[14:17], v65 offset:7168
	;; [unrolled: 1-line block ×12, first 2 shown]
	v_add_nc_u32_e32 v8, v65, v25
	s_waitcnt lgkmcnt(0)
	s_barrier
	buffer_gl0_inv
	s_mov_b32 s6, 0x429ad128
	s_mov_b32 s19, 0x3fe11646
	;; [unrolled: 1-line block ×3, first 2 shown]
	v_add_f64 v[0:1], v[4:5], -v[0:1]
	v_add_f64 v[2:3], v[6:7], -v[2:3]
	;; [unrolled: 1-line block ×14, first 2 shown]
	v_lshl_add_u32 v69, v26, 5, 0
	v_lshl_add_u32 v67, v36, 5, 0
	;; [unrolled: 1-line block ×4, first 2 shown]
	s_mov_b32 s12, 0x36b3c0b5
	s_mov_b32 s22, 0x37e14327
	;; [unrolled: 1-line block ×4, first 2 shown]
	v_fma_f64 v[4:5], v[4:5], 2.0, -v[0:1]
	v_fma_f64 v[6:7], v[6:7], 2.0, -v[2:3]
	;; [unrolled: 1-line block ×14, first 2 shown]
	v_lshl_add_u32 v70, v34, 5, 0
	v_lshlrev_b32_e32 v71, 4, v36
	v_lshlrev_b32_e32 v72, 4, v35
	;; [unrolled: 1-line block ×3, first 2 shown]
	s_mov_b32 s4, 0xb247c609
	s_mov_b32 s5, 0xbfd5d0dc
	;; [unrolled: 1-line block ×3, first 2 shown]
	ds_write_b128 v8, v[0:3] offset:16
	ds_write_b128 v69, v[14:17] offset:16
	ds_write_b128 v67, v[18:21] offset:16
	ds_write_b128 v29, v[45:48] offset:16
	ds_write_b128 v70, v[49:52] offset:16
	ds_write_b128 v68, v[61:64] offset:16
	ds_write_b128 v66, v[74:77] offset:16
	ds_write_b128 v8, v[4:7]
	ds_write_b128 v69, v[10:13]
	;; [unrolled: 1-line block ×7, first 2 shown]
	s_waitcnt lgkmcnt(0)
	s_barrier
	buffer_gl0_inv
	global_load_dwordx4 v[2:5], v22, s[8:9]
	ds_read_b128 v[10:13], v65 offset:6272
	ds_read_b128 v[14:17], v65 offset:7168
	;; [unrolled: 1-line block ×4, first 2 shown]
	ds_read_b128 v[53:56], v65
	ds_read_b128 v[41:44], v65 offset:9856
	ds_read_b128 v[45:48], v65 offset:10752
	;; [unrolled: 1-line block ×3, first 2 shown]
	v_lshlrev_b32_e32 v74, 4, v33
	v_sub_nc_u32_e32 v76, v69, v27
	v_sub_nc_u32_e32 v78, v67, v71
	v_lshlrev_b32_e32 v75, 4, v32
	v_sub_nc_u32_e32 v8, v29, v72
	v_sub_nc_u32_e32 v79, v70, v73
	;; [unrolled: 1-line block ×3, first 2 shown]
	ds_read_b128 v[57:60], v76
	ds_read_b128 v[61:64], v78
	ds_read_b128 v[80:83], v8
	ds_read_b128 v[84:87], v79
	v_sub_nc_u32_e32 v77, v66, v75
	v_lshlrev_b32_e32 v0, 1, v24
	v_lshlrev_b32_e32 v1, 1, v26
	;; [unrolled: 1-line block ×3, first 2 shown]
	s_mov_b32 s10, s4
	s_mov_b32 s16, 0x5476071b
	v_and_or_b32 v114, 0x7c, v0, v9
	s_mov_b32 s24, 0xaaaaaaaa
	s_mov_b32 s17, 0x3fe77f67
	;; [unrolled: 1-line block ×7, first 2 shown]
	s_add_u32 s1, s8, 0x30e0
	s_waitcnt vmcnt(0) lgkmcnt(11)
	v_mul_f64 v[22:23], v[12:13], v[4:5]
	v_mul_f64 v[88:89], v[10:11], v[4:5]
	s_waitcnt lgkmcnt(10)
	v_mul_f64 v[90:91], v[16:17], v[4:5]
	v_mul_f64 v[92:93], v[14:15], v[4:5]
	s_waitcnt lgkmcnt(9)
	;; [unrolled: 3-line block ×6, first 2 shown]
	v_mul_f64 v[110:111], v[51:52], v[4:5]
	v_mul_f64 v[4:5], v[49:50], v[4:5]
	v_fma_f64 v[22:23], v[10:11], v[2:3], v[22:23]
	v_fma_f64 v[88:89], v[12:13], v[2:3], -v[88:89]
	v_fma_f64 v[90:91], v[14:15], v[2:3], v[90:91]
	v_fma_f64 v[92:93], v[16:17], v[2:3], -v[92:93]
	;; [unrolled: 2-line block ×6, first 2 shown]
	v_fma_f64 v[110:111], v[49:50], v[2:3], v[110:111]
	ds_read_b128 v[11:14], v7
	ds_read_b128 v[15:18], v77
	v_fma_f64 v[112:113], v[51:52], v[2:3], -v[4:5]
	v_lshlrev_b32_e32 v2, 1, v36
	v_lshlrev_b32_e32 v3, 1, v35
	;; [unrolled: 1-line block ×4, first 2 shown]
	v_and_b32_e32 v10, 3, v24
	s_waitcnt lgkmcnt(0)
	v_add_f64 v[19:20], v[53:54], -v[22:23]
	v_add_f64 v[21:22], v[55:56], -v[88:89]
	;; [unrolled: 1-line block ×10, first 2 shown]
	v_and_or_b32 v23, 0xfc, v1, v9
	v_add_f64 v[88:89], v[11:12], -v[106:107]
	v_add_f64 v[90:91], v[13:14], -v[108:109]
	v_add_f64 v[92:93], v[15:16], -v[110:111]
	v_and_or_b32 v96, 0x1fc, v2, v9
	v_add_f64 v[94:95], v[17:18], -v[112:113]
	v_and_or_b32 v97, 0x1fc, v3, v9
	v_and_or_b32 v98, 0x3fc, v4, v9
	v_and_or_b32 v99, 0x2fc, v5, v9
	v_and_or_b32 v9, 0x3fc, v6, v9
	v_lshlrev_b32_e32 v100, 4, v10
	v_lshl_add_u32 v101, v114, 4, 0
	v_fma_f64 v[53:54], v[53:54], 2.0, -v[19:20]
	v_fma_f64 v[55:56], v[55:56], 2.0, -v[21:22]
	;; [unrolled: 1-line block ×10, first 2 shown]
	v_lshl_add_u32 v23, v23, 4, 0
	v_fma_f64 v[11:12], v[11:12], 2.0, -v[88:89]
	v_fma_f64 v[13:14], v[13:14], 2.0, -v[90:91]
	;; [unrolled: 1-line block ×3, first 2 shown]
	v_lshl_add_u32 v96, v96, 4, 0
	v_fma_f64 v[17:18], v[17:18], 2.0, -v[94:95]
	v_lshl_add_u32 v97, v97, 4, 0
	v_lshl_add_u32 v98, v98, 4, 0
	;; [unrolled: 1-line block ×4, first 2 shown]
	s_barrier
	buffer_gl0_inv
	ds_write_b128 v101, v[19:22] offset:32
	ds_write_b128 v101, v[53:56]
	ds_write_b128 v23, v[57:60]
	ds_write_b128 v23, v[37:40] offset:32
	ds_write_b128 v96, v[61:64]
	ds_write_b128 v96, v[41:44] offset:32
	;; [unrolled: 2-line block ×6, first 2 shown]
	s_waitcnt lgkmcnt(0)
	s_barrier
	buffer_gl0_inv
	global_load_dwordx4 v[11:14], v100, s[8:9] offset:32
	ds_read_b128 v[15:18], v65 offset:6272
	ds_read_b128 v[19:22], v65 offset:7168
	ds_read_b128 v[37:40], v65 offset:8064
	ds_read_b128 v[41:44], v65 offset:8960
	ds_read_b128 v[45:48], v65 offset:9856
	ds_read_b128 v[49:52], v65 offset:10752
	ds_read_b128 v[53:56], v65 offset:11648
	ds_read_b128 v[57:60], v65
	ds_read_b128 v[61:64], v76
	;; [unrolled: 1-line block ×5, first 2 shown]
	v_and_or_b32 v23, 0x78, v0, v10
	v_and_b32_e32 v9, 7, v24
	v_lshl_add_u32 v23, v23, 4, 0
	v_and_or_b32 v0, 0x70, v0, v9
	s_waitcnt vmcnt(0) lgkmcnt(11)
	v_mul_f64 v[92:93], v[17:18], v[13:14]
	v_mul_f64 v[94:95], v[15:16], v[13:14]
	s_waitcnt lgkmcnt(10)
	v_mul_f64 v[96:97], v[21:22], v[13:14]
	v_mul_f64 v[98:99], v[19:20], v[13:14]
	s_waitcnt lgkmcnt(9)
	;; [unrolled: 3-line block ×6, first 2 shown]
	v_mul_f64 v[116:117], v[55:56], v[13:14]
	v_mul_f64 v[118:119], v[53:54], v[13:14]
	v_fma_f64 v[92:93], v[15:16], v[11:12], v[92:93]
	v_fma_f64 v[94:95], v[17:18], v[11:12], -v[94:95]
	v_fma_f64 v[96:97], v[19:20], v[11:12], v[96:97]
	v_fma_f64 v[21:22], v[21:22], v[11:12], -v[98:99]
	;; [unrolled: 2-line block ×6, first 2 shown]
	v_fma_f64 v[114:115], v[53:54], v[11:12], v[116:117]
	ds_read_b128 v[13:16], v7
	ds_read_b128 v[17:20], v77
	v_fma_f64 v[11:12], v[55:56], v[11:12], -v[118:119]
	s_waitcnt lgkmcnt(0)
	s_barrier
	buffer_gl0_inv
	v_add_f64 v[37:38], v[57:58], -v[92:93]
	v_add_f64 v[39:40], v[59:60], -v[94:95]
	;; [unrolled: 1-line block ×10, first 2 shown]
	v_and_or_b32 v21, 0xf8, v1, v10
	v_add_f64 v[92:93], v[13:14], -v[110:111]
	v_add_f64 v[94:95], v[15:16], -v[112:113]
	;; [unrolled: 1-line block ×3, first 2 shown]
	v_and_or_b32 v22, 0x1f8, v2, v10
	v_add_f64 v[98:99], v[19:20], -v[11:12]
	v_and_or_b32 v100, 0x1f8, v3, v10
	v_and_or_b32 v101, 0x3f8, v4, v10
	;; [unrolled: 1-line block ×4, first 2 shown]
	v_lshlrev_b32_e32 v104, 4, v9
	v_and_or_b32 v1, 0xf0, v1, v9
	v_fma_f64 v[57:58], v[57:58], 2.0, -v[37:38]
	v_fma_f64 v[59:60], v[59:60], 2.0, -v[39:40]
	;; [unrolled: 1-line block ×13, first 2 shown]
	v_lshl_add_u32 v18, v21, 4, 0
	v_fma_f64 v[16:17], v[19:20], 2.0, -v[98:99]
	v_lshl_add_u32 v19, v22, 4, 0
	v_lshl_add_u32 v20, v100, 4, 0
	;; [unrolled: 1-line block ×5, first 2 shown]
	ds_write_b128 v23, v[37:40] offset:64
	ds_write_b128 v23, v[57:60]
	ds_write_b128 v18, v[61:64]
	ds_write_b128 v18, v[41:44] offset:64
	ds_write_b128 v19, v[80:83]
	ds_write_b128 v19, v[45:48] offset:64
	;; [unrolled: 2-line block ×6, first 2 shown]
	s_waitcnt lgkmcnt(0)
	s_barrier
	buffer_gl0_inv
	global_load_dwordx4 v[10:13], v104, s[8:9] offset:96
	ds_read_b128 v[14:17], v65 offset:6272
	ds_read_b128 v[18:21], v65 offset:7168
	;; [unrolled: 1-line block ×7, first 2 shown]
	ds_read_b128 v[57:60], v65
	ds_read_b128 v[61:64], v76
	;; [unrolled: 1-line block ×5, first 2 shown]
	v_and_b32_e32 v80, 15, v24
	s_waitcnt vmcnt(0) lgkmcnt(11)
	v_mul_f64 v[22:23], v[16:17], v[12:13]
	v_mul_f64 v[93:94], v[14:15], v[12:13]
	s_waitcnt lgkmcnt(10)
	v_mul_f64 v[95:96], v[20:21], v[12:13]
	v_mul_f64 v[97:98], v[18:19], v[12:13]
	s_waitcnt lgkmcnt(9)
	;; [unrolled: 3-line block ×6, first 2 shown]
	v_mul_f64 v[115:116], v[55:56], v[12:13]
	v_mul_f64 v[117:118], v[53:54], v[12:13]
	v_fma_f64 v[22:23], v[14:15], v[10:11], v[22:23]
	v_fma_f64 v[93:94], v[16:17], v[10:11], -v[93:94]
	v_fma_f64 v[95:96], v[18:19], v[10:11], v[95:96]
	v_fma_f64 v[97:98], v[20:21], v[10:11], -v[97:98]
	;; [unrolled: 2-line block ×6, first 2 shown]
	v_fma_f64 v[115:116], v[53:54], v[10:11], v[115:116]
	ds_read_b128 v[12:15], v7
	ds_read_b128 v[16:19], v77
	v_fma_f64 v[7:8], v[55:56], v[10:11], -v[117:118]
	s_waitcnt lgkmcnt(0)
	s_barrier
	buffer_gl0_inv
	v_add_f64 v[20:21], v[57:58], -v[22:23]
	v_add_f64 v[22:23], v[59:60], -v[93:94]
	;; [unrolled: 1-line block ×10, first 2 shown]
	v_and_or_b32 v97, 0x1f0, v2, v9
	v_add_f64 v[53:54], v[12:13], -v[111:112]
	v_add_f64 v[55:56], v[14:15], -v[113:114]
	;; [unrolled: 1-line block ×3, first 2 shown]
	v_and_or_b32 v98, 0x1f0, v3, v9
	v_add_f64 v[95:96], v[18:19], -v[7:8]
	v_lshl_add_u32 v103, v0, 4, 0
	v_lshl_add_u32 v104, v1, 4, 0
	v_and_or_b32 v99, 0x3f0, v4, v9
	v_and_or_b32 v100, 0x2f0, v5, v9
	;; [unrolled: 1-line block ×3, first 2 shown]
	v_mul_u32_u24_e32 v102, 6, v80
	v_fma_f64 v[0:1], v[57:58], 2.0, -v[20:21]
	v_fma_f64 v[2:3], v[59:60], 2.0, -v[22:23]
	;; [unrolled: 1-line block ×10, first 2 shown]
	v_lshlrev_b32_e32 v90, 4, v102
	v_fma_f64 v[12:13], v[12:13], 2.0, -v[53:54]
	v_fma_f64 v[14:15], v[14:15], 2.0, -v[55:56]
	;; [unrolled: 1-line block ×3, first 2 shown]
	v_lshl_add_u32 v81, v97, 4, 0
	v_fma_f64 v[18:19], v[18:19], 2.0, -v[95:96]
	v_lshl_add_u32 v82, v98, 4, 0
	v_lshl_add_u32 v83, v99, 4, 0
	;; [unrolled: 1-line block ×4, first 2 shown]
	ds_write_b128 v103, v[20:23] offset:128
	ds_write_b128 v103, v[0:3]
	ds_write_b128 v104, v[4:7]
	ds_write_b128 v104, v[37:40] offset:128
	ds_write_b128 v81, v[8:11]
	ds_write_b128 v81, v[41:44] offset:128
	;; [unrolled: 2-line block ×6, first 2 shown]
	s_waitcnt lgkmcnt(0)
	s_barrier
	buffer_gl0_inv
	s_clause 0x3
	global_load_dwordx4 v[4:7], v90, s[8:9] offset:224
	global_load_dwordx4 v[41:44], v90, s[8:9] offset:240
	global_load_dwordx4 v[45:48], v90, s[8:9] offset:256
	global_load_dwordx4 v[49:52], v90, s[8:9] offset:288
	v_and_b32_e32 v81, 15, v26
	global_load_dwordx4 v[53:56], v90, s[8:9] offset:304
	v_mul_u32_u24_e32 v0, 6, v81
	v_lshlrev_b32_e32 v0, 4, v0
	s_clause 0x6
	global_load_dwordx4 v[61:64], v0, s[8:9] offset:224
	global_load_dwordx4 v[82:85], v0, s[8:9] offset:240
	;; [unrolled: 1-line block ×7, first 2 shown]
	ds_read_b128 v[57:60], v78
	ds_read_b128 v[90:93], v79
	;; [unrolled: 1-line block ×4, first 2 shown]
	ds_read_b128 v[98:101], v65 offset:8960
	ds_read_b128 v[106:109], v65 offset:2688
	ds_read_b128 v[102:105], v65 offset:10752
	ds_read_b128 v[110:113], v65 offset:9856
	s_waitcnt vmcnt(11) lgkmcnt(7)
	v_mul_f64 v[37:38], v[59:60], v[6:7]
	v_mul_f64 v[6:7], v[57:58], v[6:7]
	s_waitcnt vmcnt(10) lgkmcnt(6)
	v_mul_f64 v[114:115], v[92:93], v[43:44]
	v_mul_f64 v[116:117], v[90:91], v[43:44]
	s_waitcnt vmcnt(9) lgkmcnt(5)
	v_mul_f64 v[118:119], v[96:97], v[47:48]
	v_mul_f64 v[120:121], v[94:95], v[47:48]
	s_waitcnt vmcnt(7) lgkmcnt(1)
	v_mul_f64 v[122:123], v[104:105], v[55:56]
	v_mul_f64 v[55:56], v[102:103], v[55:56]
	v_fma_f64 v[39:40], v[57:58], v[4:5], v[37:38]
	v_fma_f64 v[37:38], v[59:60], v[4:5], -v[6:7]
	v_mul_f64 v[57:58], v[100:101], v[51:52]
	v_mul_f64 v[59:60], v[98:99], v[51:52]
	v_fma_f64 v[43:44], v[90:91], v[41:42], v[114:115]
	v_fma_f64 v[41:42], v[92:93], v[41:42], -v[116:117]
	ds_read_b128 v[90:93], v65 offset:4480
	ds_read_b128 v[114:117], v65 offset:11648
	v_fma_f64 v[47:48], v[94:95], v[45:46], v[118:119]
	v_fma_f64 v[45:46], v[96:97], v[45:46], -v[120:121]
	s_waitcnt vmcnt(6)
	v_mul_f64 v[118:119], v[108:109], v[63:64]
	v_mul_f64 v[63:64], v[106:107], v[63:64]
	ds_read_b128 v[4:7], v65
	ds_read_b128 v[94:97], v65 offset:6272
	v_fma_f64 v[51:52], v[98:99], v[49:50], v[57:58]
	s_waitcnt vmcnt(5) lgkmcnt(3)
	v_mul_f64 v[120:121], v[92:93], v[84:85]
	v_mul_f64 v[84:85], v[90:91], v[84:85]
	v_fma_f64 v[49:50], v[100:101], v[49:50], -v[59:60]
	ds_read_b128 v[98:101], v65 offset:7168
	v_fma_f64 v[59:60], v[102:103], v[53:54], v[122:123]
	s_waitcnt vmcnt(4) lgkmcnt(3)
	v_mul_f64 v[122:123], v[116:117], v[88:89]
	v_mul_f64 v[88:89], v[114:115], v[88:89]
	v_fma_f64 v[57:58], v[104:105], v[53:54], -v[55:56]
	ds_read_b128 v[102:105], v65 offset:8064
	v_fma_f64 v[53:54], v[106:107], v[61:62], v[118:119]
	v_fma_f64 v[55:56], v[108:109], v[61:62], -v[63:64]
	s_waitcnt vmcnt(0) lgkmcnt(0)
	s_barrier
	buffer_gl0_inv
	v_fma_f64 v[63:64], v[90:91], v[82:83], v[120:121]
	v_mul_f64 v[106:107], v[100:101], v[14:15]
	v_fma_f64 v[61:62], v[92:93], v[82:83], -v[84:85]
	v_mul_f64 v[82:83], v[112:113], v[22:23]
	v_mul_f64 v[84:85], v[98:99], v[14:15]
	;; [unrolled: 1-line block ×4, first 2 shown]
	v_fma_f64 v[14:15], v[114:115], v[86:87], v[122:123]
	v_fma_f64 v[22:23], v[116:117], v[86:87], -v[88:89]
	v_mul_f64 v[18:19], v[94:95], v[18:19]
	v_mul_f64 v[86:87], v[104:105], v[10:11]
	;; [unrolled: 1-line block ×3, first 2 shown]
	v_lshrrev_b32_e32 v116, 4, v26
	v_mul_u32_u24_e32 v117, 6, v24
	v_mul_lo_u32 v116, 0x70, v116
	v_fma_f64 v[88:89], v[98:99], v[12:13], v[106:107]
	v_fma_f64 v[82:83], v[110:111], v[20:21], v[82:83]
	v_fma_f64 v[12:13], v[100:101], v[12:13], -v[84:85]
	v_fma_f64 v[20:21], v[112:113], v[20:21], -v[90:91]
	v_fma_f64 v[84:85], v[94:95], v[16:17], v[92:93]
	v_add_f64 v[90:91], v[37:38], v[57:58]
	v_add_f64 v[92:93], v[41:42], v[49:50]
	v_fma_f64 v[16:17], v[96:97], v[16:17], -v[18:19]
	v_fma_f64 v[18:19], v[102:103], v[8:9], v[86:87]
	v_fma_f64 v[8:9], v[104:105], v[8:9], -v[10:11]
	v_add_f64 v[10:11], v[39:40], v[59:60]
	v_add_f64 v[86:87], v[43:44], v[51:52]
	v_lshrrev_b32_e32 v104, 4, v24
	v_add_f64 v[94:95], v[53:54], v[14:15]
	v_add_f64 v[98:99], v[55:56], v[22:23]
	v_add_f64 v[43:44], v[43:44], -v[51:52]
	v_add_f64 v[39:40], v[39:40], -v[59:60]
	v_mul_u32_u24_e32 v118, 0x70, v104
	v_add_f64 v[41:42], v[41:42], -v[49:50]
	v_add_f64 v[37:38], v[37:38], -v[57:58]
	;; [unrolled: 1-line block ×3, first 2 shown]
	v_add_f64 v[102:103], v[47:48], v[88:89]
	v_add_f64 v[47:48], v[88:89], -v[47:48]
	v_add_f64 v[96:97], v[63:64], v[82:83]
	v_add_f64 v[104:105], v[45:46], v[12:13]
	;; [unrolled: 1-line block ×3, first 2 shown]
	v_add_f64 v[12:13], v[12:13], -v[45:46]
	v_add_f64 v[45:46], v[63:64], -v[82:83]
	v_add_f64 v[49:50], v[92:93], v[90:91]
	v_add_f64 v[20:21], v[61:62], -v[20:21]
	v_add_f64 v[106:107], v[84:85], v[18:19]
	v_add_f64 v[108:109], v[16:17], v[8:9]
	v_add_f64 v[18:19], v[18:19], -v[84:85]
	v_add_f64 v[8:9], v[8:9], -v[16:17]
	v_add_f64 v[16:17], v[55:56], -v[22:23]
	v_add_f64 v[22:23], v[86:87], v[10:11]
	v_add_f64 v[59:60], v[92:93], -v[90:91]
	v_add_f64 v[55:56], v[86:87], -v[10:11]
	;; [unrolled: 1-line block ×4, first 2 shown]
	v_add_f64 v[51:52], v[96:97], v[94:95]
	v_add_f64 v[63:64], v[90:91], -v[104:105]
	v_add_f64 v[53:54], v[100:101], v[98:99]
	v_add_f64 v[90:91], v[43:44], -v[39:40]
	v_add_f64 v[10:11], v[10:11], -v[102:103]
	;; [unrolled: 1-line block ×6, first 2 shown]
	v_add_f64 v[43:44], v[47:48], v[43:44]
	v_add_f64 v[94:95], v[12:13], v[41:42]
	;; [unrolled: 1-line block ×3, first 2 shown]
	v_add_f64 v[112:113], v[12:13], -v[41:42]
	v_add_f64 v[41:42], v[41:42], -v[37:38]
	;; [unrolled: 1-line block ×3, first 2 shown]
	v_add_f64 v[22:23], v[102:103], v[22:23]
	v_add_f64 v[49:50], v[104:105], v[49:50]
	v_add_f64 v[92:93], v[100:101], -v[98:99]
	v_add_f64 v[110:111], v[8:9], v[20:21]
	v_add_f64 v[100:101], v[108:109], -v[100:101]
	v_add_f64 v[98:99], v[98:99], -v[108:109]
	;; [unrolled: 1-line block ×5, first 2 shown]
	v_add_f64 v[51:52], v[106:107], v[51:52]
	v_add_f64 v[53:54], v[108:109], v[53:54]
	v_add_f64 v[20:21], v[20:21], -v[16:17]
	v_mul_f64 v[88:89], v[88:89], s[18:19]
	v_mul_f64 v[104:105], v[90:91], s[6:7]
	v_add_f64 v[12:13], v[37:38], -v[12:13]
	v_add_f64 v[18:19], v[14:15], -v[18:19]
	v_add_f64 v[39:40], v[43:44], v[39:40]
	v_add_f64 v[37:38], v[94:95], v[37:38]
	;; [unrolled: 1-line block ×3, first 2 shown]
	v_mul_f64 v[43:44], v[112:113], s[18:19]
	v_mul_f64 v[94:95], v[41:42], s[6:7]
	;; [unrolled: 1-line block ×7, first 2 shown]
	v_add_f64 v[4:5], v[4:5], v[22:23]
	v_add_f64 v[6:7], v[6:7], v[49:50]
	v_add_f64 v[8:9], v[16:17], -v[8:9]
	v_add_f64 v[16:17], v[110:111], v[16:17]
	v_mul_f64 v[110:111], v[45:46], s[6:7]
	v_mul_f64 v[102:103], v[102:103], s[18:19]
	v_add_f64 v[0:1], v[0:1], v[51:52]
	v_add_f64 v[2:3], v[2:3], v[53:54]
	v_mul_f64 v[112:113], v[20:21], s[6:7]
	v_mul_f64 v[114:115], v[84:85], s[12:13]
	v_fma_f64 v[90:91], v[90:91], s[6:7], -v[88:89]
	v_fma_f64 v[104:105], v[47:48], s[10:11], -v[104:105]
	v_fma_f64 v[47:48], v[47:48], s[4:5], v[88:89]
	v_mul_f64 v[88:89], v[100:101], s[12:13]
	v_mul_f64 v[86:87], v[86:87], s[22:23]
	;; [unrolled: 1-line block ×3, first 2 shown]
	v_fma_f64 v[41:42], v[41:42], s[6:7], -v[43:44]
	v_fma_f64 v[94:95], v[12:13], s[10:11], -v[94:95]
	v_fma_f64 v[12:13], v[12:13], s[4:5], v[43:44]
	v_fma_f64 v[43:44], v[55:56], s[16:17], -v[96:97]
	v_fma_f64 v[55:56], v[55:56], s[14:15], -v[10:11]
	v_fma_f64 v[10:11], v[57:58], s[12:13], v[10:11]
	v_fma_f64 v[57:58], v[59:60], s[16:17], -v[106:107]
	v_fma_f64 v[22:23], v[22:23], s[24:25], v[4:5]
	v_fma_f64 v[49:50], v[49:50], s[24:25], v[6:7]
	v_fma_f64 v[59:60], v[59:60], s[14:15], -v[63:64]
	v_fma_f64 v[61:62], v[61:62], s[12:13], v[63:64]
	v_fma_f64 v[45:46], v[45:46], s[6:7], -v[108:109]
	v_fma_f64 v[63:64], v[18:19], s[10:11], -v[110:111]
	v_fma_f64 v[18:19], v[18:19], s[4:5], v[108:109]
	v_fma_f64 v[20:21], v[20:21], s[6:7], -v[102:103]
	;; [unrolled: 3-line block ×3, first 2 shown]
	v_fma_f64 v[51:52], v[51:52], s[24:25], v[0:1]
	v_fma_f64 v[88:89], v[92:93], s[16:17], -v[88:89]
	v_fma_f64 v[53:54], v[53:54], s[24:25], v[2:3]
	v_fma_f64 v[82:83], v[82:83], s[14:15], -v[86:87]
	;; [unrolled: 2-line block ×3, first 2 shown]
	v_fma_f64 v[92:93], v[100:101], s[12:13], v[98:99]
	v_fma_f64 v[90:91], v[39:40], s[20:21], v[90:91]
	;; [unrolled: 1-line block ×5, first 2 shown]
	v_add_f64 v[41:42], v[43:44], v[22:23]
	v_add_f64 v[43:44], v[57:58], v[49:50]
	v_fma_f64 v[57:58], v[37:38], s[20:21], v[94:95]
	v_fma_f64 v[94:95], v[37:38], s[20:21], v[12:13]
	v_add_f64 v[37:38], v[55:56], v[22:23]
	v_add_f64 v[55:56], v[59:60], v[49:50]
	v_fma_f64 v[59:60], v[14:15], s[20:21], v[45:46]
	v_add_f64 v[45:46], v[10:11], v[22:23]
	v_add_f64 v[49:50], v[61:62], v[49:50]
	v_fma_f64 v[61:62], v[16:17], s[20:21], v[96:97]
	v_fma_f64 v[104:105], v[16:17], s[20:21], v[8:9]
	v_add_f64 v[96:97], v[102:103], v[51:52]
	v_fma_f64 v[102:103], v[14:15], s[20:21], v[18:19]
	v_add_f64 v[88:89], v[88:89], v[53:54]
	;; [unrolled: 2-line block ×3, first 2 shown]
	v_add_f64 v[82:83], v[82:83], v[51:52]
	v_add_f64 v[92:93], v[92:93], v[53:54]
	;; [unrolled: 1-line block ×3, first 2 shown]
	v_fma_f64 v[100:101], v[16:17], s[20:21], v[20:21]
	v_or_b32_e32 v106, v118, v80
	v_or_b32_e32 v107, v116, v81
	v_add_f64 v[8:9], v[41:42], -v[39:40]
	v_add_f64 v[12:13], v[39:40], v[41:42]
	v_add_f64 v[10:11], v[90:91], v[43:44]
	v_add_f64 v[14:15], v[43:44], -v[90:91]
	v_add_f64 v[16:17], v[57:58], v[37:38]
	v_add_f64 v[20:21], v[37:38], -v[57:58]
	v_add_f64 v[18:19], v[55:56], -v[98:99]
	v_add_f64 v[37:38], v[94:95], v[45:46]
	v_add_f64 v[39:40], v[49:50], -v[47:48]
	v_add_f64 v[22:23], v[98:99], v[55:56]
	;; [unrolled: 2-line block ×3, first 2 shown]
	v_add_f64 v[47:48], v[59:60], v[88:89]
	v_add_f64 v[51:52], v[88:89], -v[59:60]
	v_add_f64 v[57:58], v[104:105], v[84:85]
	v_add_f64 v[53:54], v[61:62], v[82:83]
	v_add_f64 v[59:60], v[92:93], -v[102:103]
	v_add_f64 v[55:56], v[86:87], -v[63:64]
	;; [unrolled: 1-line block ×3, first 2 shown]
	v_add_f64 v[49:50], v[100:101], v[96:97]
	v_add_f64 v[61:62], v[82:83], -v[61:62]
	v_add_f64 v[63:64], v[63:64], v[86:87]
	v_add_f64 v[80:81], v[84:85], -v[104:105]
	v_add_f64 v[82:83], v[102:103], v[92:93]
	v_lshlrev_b32_e32 v84, 4, v117
	v_lshl_add_u32 v85, v106, 4, 0
	v_lshl_add_u32 v86, v107, 4, 0
	ds_write_b128 v85, v[4:7]
	ds_write_b128 v85, v[37:40] offset:256
	ds_write_b128 v85, v[16:19] offset:512
	;; [unrolled: 1-line block ×6, first 2 shown]
	ds_write_b128 v86, v[0:3]
	ds_write_b128 v86, v[57:60] offset:256
	ds_write_b128 v86, v[53:56] offset:512
	;; [unrolled: 1-line block ×6, first 2 shown]
	s_waitcnt lgkmcnt(0)
	s_barrier
	buffer_gl0_inv
	s_clause 0x3
	global_load_dwordx4 v[3:6], v84, s[8:9] offset:1760
	global_load_dwordx4 v[7:10], v84, s[8:9] offset:1776
	;; [unrolled: 1-line block ×4, first 2 shown]
	v_mul_i32_i24_e32 v1, 6, v26
	v_mov_b32_e32 v2, 0
	v_lshlrev_b64 v[0:1], 4, v[1:2]
	v_add_co_u32 v0, s0, s8, v0
	v_add_co_ci_u32_e64 v1, s0, s9, v1, s0
	s_clause 0x7
	global_load_dwordx4 v[19:22], v[0:1], off offset:1760
	global_load_dwordx4 v[37:40], v[0:1], off offset:1776
	;; [unrolled: 1-line block ×4, first 2 shown]
	global_load_dwordx4 v[49:52], v84, s[8:9] offset:1792
	global_load_dwordx4 v[53:56], v84, s[8:9] offset:1808
	global_load_dwordx4 v[57:60], v[0:1], off offset:1792
	global_load_dwordx4 v[61:64], v[0:1], off offset:1808
	ds_read_b128 v[80:83], v78
	ds_read_b128 v[84:87], v79
	ds_read_b128 v[88:91], v65 offset:8960
	ds_read_b128 v[92:95], v76
	ds_read_b128 v[96:99], v77
	ds_read_b128 v[100:103], v65 offset:10752
	ds_read_b128 v[104:107], v65 offset:9856
	;; [unrolled: 1-line block ×3, first 2 shown]
	s_waitcnt vmcnt(11) lgkmcnt(7)
	v_mul_f64 v[0:1], v[82:83], v[5:6]
	v_mul_f64 v[5:6], v[80:81], v[5:6]
	s_waitcnt vmcnt(10) lgkmcnt(6)
	v_mul_f64 v[77:78], v[86:87], v[9:10]
	v_mul_f64 v[9:10], v[84:85], v[9:10]
	s_waitcnt vmcnt(9) lgkmcnt(5)
	v_mul_f64 v[112:113], v[90:91], v[13:14]
	s_waitcnt vmcnt(8) lgkmcnt(2)
	v_mul_f64 v[114:115], v[102:103], v[17:18]
	v_mul_f64 v[13:14], v[88:89], v[13:14]
	;; [unrolled: 1-line block ×3, first 2 shown]
	s_waitcnt vmcnt(5) lgkmcnt(1)
	v_mul_f64 v[116:117], v[106:107], v[43:44]
	v_mul_f64 v[43:44], v[104:105], v[43:44]
	v_fma_f64 v[0:1], v[80:81], v[3:4], v[0:1]
	v_fma_f64 v[81:82], v[82:83], v[3:4], -v[5:6]
	ds_read_b128 v[3:6], v65 offset:11648
	v_fma_f64 v[83:84], v[84:85], v[7:8], v[77:78]
	v_fma_f64 v[85:86], v[86:87], v[7:8], -v[9:10]
	ds_read_b128 v[7:10], v65 offset:4480
	ds_read_b128 v[77:80], v65
	v_fma_f64 v[87:88], v[88:89], v[11:12], v[112:113]
	s_waitcnt lgkmcnt(3)
	v_mul_f64 v[112:113], v[110:111], v[21:22]
	v_mul_f64 v[21:22], v[108:109], v[21:22]
	v_fma_f64 v[100:101], v[100:101], v[15:16], v[114:115]
	v_fma_f64 v[89:90], v[90:91], v[11:12], -v[13:14]
	ds_read_b128 v[11:14], v65 offset:6272
	v_fma_f64 v[102:103], v[102:103], v[15:16], -v[17:18]
	ds_read_b128 v[15:18], v65 offset:7168
	v_fma_f64 v[104:105], v[104:105], v[41:42], v[116:117]
	v_fma_f64 v[41:42], v[106:107], v[41:42], -v[43:44]
	s_waitcnt vmcnt(3)
	v_mul_f64 v[43:44], v[96:97], v[51:52]
	s_waitcnt lgkmcnt(3)
	v_mul_f64 v[114:115], v[9:10], v[39:40]
	v_mul_f64 v[39:40], v[7:8], v[39:40]
	v_fma_f64 v[108:109], v[108:109], v[19:20], v[112:113]
	v_fma_f64 v[19:20], v[110:111], v[19:20], -v[21:22]
	v_mul_f64 v[21:22], v[5:6], v[47:48]
	v_mul_f64 v[47:48], v[3:4], v[47:48]
	s_waitcnt vmcnt(2) lgkmcnt(0)
	v_mul_f64 v[112:113], v[17:18], v[55:56]
	v_fma_f64 v[43:44], v[98:99], v[49:50], -v[43:44]
	v_fma_f64 v[110:111], v[7:8], v[37:38], v[114:115]
	v_fma_f64 v[37:38], v[9:10], v[37:38], -v[39:40]
	ds_read_b128 v[7:10], v65 offset:8064
	v_mul_f64 v[39:40], v[98:99], v[51:52]
	v_mul_f64 v[51:52], v[15:16], v[55:56]
	s_waitcnt vmcnt(1)
	v_mul_f64 v[55:56], v[13:14], v[59:60]
	v_mul_f64 v[59:60], v[11:12], v[59:60]
	v_fma_f64 v[3:4], v[3:4], v[45:46], v[21:22]
	v_fma_f64 v[5:6], v[5:6], v[45:46], -v[47:48]
	v_fma_f64 v[15:16], v[15:16], v[53:54], v[112:113]
	v_add_f64 v[47:48], v[81:82], v[102:103]
	v_add_f64 v[81:82], v[81:82], -v[102:103]
	s_waitcnt vmcnt(0) lgkmcnt(0)
	s_barrier
	buffer_gl0_inv
	v_mul_f64 v[21:22], v[9:10], v[63:64]
	v_mul_f64 v[45:46], v[7:8], v[63:64]
	v_add_f64 v[63:64], v[85:86], -v[89:90]
	v_fma_f64 v[39:40], v[96:97], v[49:50], v[39:40]
	v_fma_f64 v[17:18], v[17:18], v[53:54], -v[51:52]
	v_fma_f64 v[11:12], v[11:12], v[57:58], v[55:56]
	v_fma_f64 v[13:14], v[13:14], v[57:58], -v[59:60]
	v_add_f64 v[49:50], v[85:86], v[89:90]
	v_add_f64 v[51:52], v[108:109], v[3:4]
	;; [unrolled: 1-line block ×5, first 2 shown]
	v_add_f64 v[59:60], v[83:84], -v[87:88]
	v_add_f64 v[85:86], v[110:111], -v[104:105]
	;; [unrolled: 1-line block ×4, first 2 shown]
	v_fma_f64 v[7:8], v[7:8], v[61:62], v[21:22]
	v_fma_f64 v[9:10], v[9:10], v[61:62], -v[45:46]
	v_add_f64 v[21:22], v[0:1], v[100:101]
	v_add_f64 v[45:46], v[83:84], v[87:88]
	v_add_f64 v[61:62], v[15:16], -v[39:40]
	v_add_f64 v[83:84], v[17:18], -v[43:44]
	v_add_f64 v[15:16], v[39:40], v[15:16]
	v_add_f64 v[17:18], v[43:44], v[17:18]
	v_add_f64 v[0:1], v[0:1], -v[100:101]
	v_add_f64 v[19:20], v[49:50], v[47:48]
	v_add_f64 v[98:99], v[49:50], -v[47:48]
	v_add_f64 v[100:101], v[53:54], -v[51:52]
	;; [unrolled: 1-line block ×3, first 2 shown]
	v_add_f64 v[39:40], v[11:12], v[7:8]
	v_add_f64 v[43:44], v[13:14], v[9:10]
	v_add_f64 v[7:8], v[7:8], -v[11:12]
	v_add_f64 v[11:12], v[37:38], -v[41:42]
	;; [unrolled: 1-line block ×3, first 2 shown]
	v_add_f64 v[13:14], v[45:46], v[21:22]
	v_add_f64 v[37:38], v[53:54], v[51:52]
	;; [unrolled: 1-line block ×5, first 2 shown]
	v_add_f64 v[96:97], v[45:46], -v[21:22]
	v_add_f64 v[45:46], v[15:16], -v[45:46]
	;; [unrolled: 1-line block ×13, first 2 shown]
	v_add_f64 v[106:107], v[7:8], v[85:86]
	v_add_f64 v[55:56], v[55:56], -v[43:44]
	v_add_f64 v[110:111], v[9:10], v[11:12]
	v_add_f64 v[13:14], v[15:16], v[13:14]
	;; [unrolled: 1-line block ×3, first 2 shown]
	v_add_f64 v[17:18], v[7:8], -v[85:86]
	v_add_f64 v[19:20], v[85:86], -v[3:4]
	;; [unrolled: 1-line block ×3, first 2 shown]
	v_add_f64 v[37:38], v[39:40], v[37:38]
	v_add_f64 v[39:40], v[43:44], v[41:42]
	v_add_f64 v[11:12], v[11:12], -v[5:6]
	v_add_f64 v[57:58], v[43:44], -v[57:58]
	;; [unrolled: 1-line block ×4, first 2 shown]
	v_add_f64 v[0:1], v[87:88], v[0:1]
	v_add_f64 v[41:42], v[89:90], v[81:82]
	v_mul_f64 v[43:44], v[104:105], s[18:19]
	v_mul_f64 v[81:82], v[59:60], s[6:7]
	;; [unrolled: 1-line block ×6, first 2 shown]
	v_add_f64 v[87:88], v[106:107], v[3:4]
	v_mul_f64 v[47:48], v[47:48], s[22:23]
	v_add_f64 v[106:107], v[110:111], v[5:6]
	v_add_f64 v[3:4], v[77:78], v[13:14]
	v_add_f64 v[5:6], v[79:80], v[15:16]
	v_mul_f64 v[110:111], v[49:50], s[12:13]
	v_mul_f64 v[17:18], v[17:18], s[18:19]
	;; [unrolled: 1-line block ×6, first 2 shown]
	v_add_f64 v[7:8], v[92:93], v[37:38]
	v_add_f64 v[9:10], v[94:95], v[39:40]
	v_mul_f64 v[85:86], v[11:12], s[6:7]
	v_mul_f64 v[116:117], v[53:54], s[12:13]
	;; [unrolled: 1-line block ×3, first 2 shown]
	v_fma_f64 v[59:60], v[59:60], s[6:7], -v[43:44]
	v_fma_f64 v[81:82], v[61:62], s[10:11], -v[81:82]
	v_fma_f64 v[43:44], v[61:62], s[4:5], v[43:44]
	v_fma_f64 v[61:62], v[63:64], s[6:7], -v[89:90]
	v_fma_f64 v[63:64], v[83:84], s[10:11], -v[104:105]
	v_fma_f64 v[83:84], v[83:84], s[4:5], v[89:90]
	;; [unrolled: 3-line block ×3, first 2 shown]
	v_fma_f64 v[13:14], v[13:14], s[24:25], v[3:4]
	v_fma_f64 v[15:16], v[15:16], s[24:25], v[5:6]
	v_fma_f64 v[93:94], v[98:99], s[14:15], -v[47:48]
	v_fma_f64 v[47:48], v[49:50], s[12:13], v[47:48]
	v_fma_f64 v[45:46], v[98:99], s[16:17], -v[110:111]
	v_fma_f64 v[19:20], v[19:20], s[6:7], -v[17:18]
	;; [unrolled: 1-line block ×3, first 2 shown]
	v_fma_f64 v[17:18], v[112:113], s[4:5], v[17:18]
	v_fma_f64 v[11:12], v[11:12], s[6:7], -v[79:80]
	v_fma_f64 v[79:80], v[114:115], s[4:5], v[79:80]
	v_fma_f64 v[37:38], v[37:38], s[24:25], v[7:8]
	;; [unrolled: 1-line block ×3, first 2 shown]
	v_fma_f64 v[97:98], v[100:101], s[14:15], -v[51:52]
	v_fma_f64 v[51:52], v[53:54], s[12:13], v[51:52]
	v_fma_f64 v[53:54], v[102:103], s[14:15], -v[55:56]
	v_fma_f64 v[55:56], v[57:58], s[12:13], v[55:56]
	v_fma_f64 v[77:78], v[114:115], s[10:11], -v[85:86]
	v_fma_f64 v[85:86], v[100:101], s[16:17], -v[116:117]
	;; [unrolled: 1-line block ×3, first 2 shown]
	v_fma_f64 v[57:58], v[0:1], s[20:21], v[59:60]
	v_fma_f64 v[59:60], v[0:1], s[20:21], v[81:82]
	;; [unrolled: 1-line block ×4, first 2 shown]
	v_add_f64 v[61:62], v[89:90], v[13:14]
	v_fma_f64 v[63:64], v[41:42], s[20:21], v[63:64]
	v_fma_f64 v[81:82], v[41:42], s[20:21], v[83:84]
	v_add_f64 v[41:42], v[91:92], v[13:14]
	v_add_f64 v[83:84], v[93:94], v[15:16]
	;; [unrolled: 1-line block ×5, first 2 shown]
	v_fma_f64 v[89:90], v[87:88], s[20:21], v[19:20]
	v_fma_f64 v[99:100], v[87:88], s[20:21], v[49:50]
	;; [unrolled: 1-line block ×4, first 2 shown]
	v_add_f64 v[79:80], v[97:98], v[37:38]
	v_add_f64 v[97:98], v[51:52], v[37:38]
	;; [unrolled: 1-line block ×3, first 2 shown]
	v_fma_f64 v[91:92], v[106:107], s[20:21], v[11:12]
	v_fma_f64 v[77:78], v[106:107], s[20:21], v[77:78]
	v_add_f64 v[105:106], v[53:54], v[39:40]
	v_add_f64 v[85:86], v[85:86], v[37:38]
	;; [unrolled: 1-line block ×3, first 2 shown]
	s_addc_u32 s4, s9, 0
	s_mov_b32 s5, exec_lo
	v_add_f64 v[11:12], v[61:62], -v[43:44]
	v_add_f64 v[15:16], v[43:44], v[61:62]
	v_add_f64 v[19:20], v[63:64], v[41:42]
	v_add_f64 v[37:38], v[41:42], -v[63:64]
	v_add_f64 v[41:42], v[81:82], v[93:94]
	v_add_f64 v[43:44], v[47:48], -v[0:1]
	v_add_f64 v[21:22], v[83:84], -v[59:60]
	v_add_f64 v[13:14], v[57:58], v[45:46]
	v_add_f64 v[17:18], v[45:46], -v[57:58]
	v_add_f64 v[39:40], v[59:60], v[83:84]
	;; [unrolled: 2-line block ×3, first 2 shown]
	v_add_f64 v[61:62], v[101:102], v[97:98]
	v_add_f64 v[63:64], v[103:104], -v[87:88]
	v_add_f64 v[81:82], v[97:98], -v[101:102]
	v_add_f64 v[57:58], v[77:78], v[79:80]
	v_add_f64 v[59:60], v[105:106], -v[99:100]
	v_add_f64 v[49:50], v[85:86], -v[91:92]
	v_add_f64 v[51:52], v[89:90], v[95:96]
	v_add_f64 v[53:54], v[91:92], v[85:86]
	v_add_f64 v[55:56], v[95:96], -v[89:90]
	v_add_f64 v[77:78], v[79:80], -v[77:78]
	v_add_f64 v[79:80], v[99:100], v[105:106]
	v_add_f64 v[83:84], v[87:88], v[103:104]
	ds_write_b128 v65, v[3:6]
	ds_write_b128 v65, v[41:44] offset:1792
	ds_write_b128 v65, v[19:22] offset:3584
	;; [unrolled: 1-line block ×6, first 2 shown]
	ds_write_b128 v76, v[7:10]
	ds_write_b128 v76, v[61:64] offset:1792
	ds_write_b128 v76, v[57:60] offset:3584
	;; [unrolled: 1-line block ×6, first 2 shown]
	s_waitcnt lgkmcnt(0)
	s_barrier
	buffer_gl0_inv
	ds_read_b128 v[4:7], v65
	v_sub_nc_u32_e32 v12, 0, v25
                                        ; implicit-def: $vgpr0_vgpr1
                                        ; implicit-def: $vgpr8_vgpr9
                                        ; implicit-def: $vgpr10_vgpr11
	v_cmpx_ne_u32_e32 0, v24
	s_xor_b32 s5, exec_lo, s5
	s_cbranch_execz .LBB0_15
; %bb.14:
	v_mov_b32_e32 v25, v2
	v_lshlrev_b64 v[0:1], 4, v[24:25]
	v_add_co_u32 v0, s0, s1, v0
	v_add_co_ci_u32_e64 v1, s0, s4, v1, s0
	global_load_dwordx4 v[13:16], v[0:1], off
	ds_read_b128 v[0:3], v12 offset:12544
	s_waitcnt lgkmcnt(0)
	v_add_f64 v[8:9], v[4:5], -v[0:1]
	v_add_f64 v[10:11], v[6:7], v[2:3]
	v_add_f64 v[2:3], v[6:7], -v[2:3]
	v_add_f64 v[0:1], v[4:5], v[0:1]
	v_mul_f64 v[6:7], v[8:9], 0.5
	v_mul_f64 v[4:5], v[10:11], 0.5
	;; [unrolled: 1-line block ×3, first 2 shown]
	s_waitcnt vmcnt(0)
	v_mul_f64 v[8:9], v[6:7], v[15:16]
	v_fma_f64 v[10:11], v[4:5], v[15:16], v[2:3]
	v_fma_f64 v[2:3], v[4:5], v[15:16], -v[2:3]
	v_fma_f64 v[17:18], v[0:1], 0.5, v[8:9]
	v_fma_f64 v[0:1], v[0:1], 0.5, -v[8:9]
	v_fma_f64 v[10:11], -v[13:14], v[6:7], v[10:11]
	v_fma_f64 v[2:3], -v[13:14], v[6:7], v[2:3]
	v_fma_f64 v[8:9], v[4:5], v[13:14], v[17:18]
	v_fma_f64 v[0:1], -v[4:5], v[13:14], v[0:1]
                                        ; implicit-def: $vgpr4_vgpr5
.LBB0_15:
	s_or_saveexec_b32 s0, s5
	v_sub_nc_u32_e32 v18, 0, v27
	v_sub_nc_u32_e32 v17, 0, v71
	v_sub_nc_u32_e32 v16, 0, v72
	v_sub_nc_u32_e32 v15, 0, v73
	v_sub_nc_u32_e32 v14, 0, v74
	v_sub_nc_u32_e32 v13, 0, v75
	s_xor_b32 exec_lo, exec_lo, s0
	s_cbranch_execz .LBB0_17
; %bb.16:
	v_mov_b32_e32 v21, 0
	s_waitcnt lgkmcnt(0)
	v_add_f64 v[8:9], v[4:5], v[6:7]
	v_add_f64 v[0:1], v[4:5], -v[6:7]
	v_mov_b32_e32 v10, 0
	v_mov_b32_e32 v11, 0
	ds_read_b64 v[19:20], v21 offset:6280
	v_mov_b32_e32 v2, v10
	v_mov_b32_e32 v3, v11
	s_waitcnt lgkmcnt(0)
	v_xor_b32_e32 v20, 0x80000000, v20
	ds_write_b64 v21, v[19:20] offset:6280
.LBB0_17:
	s_or_b32 exec_lo, exec_lo, s0
	v_mov_b32_e32 v27, 0
	v_add_nc_u32_e32 v18, v69, v18
	ds_write2_b64 v65, v[8:9], v[10:11] offset1:1
	ds_write_b128 v12, v[0:3] offset:12544
	v_add_nc_u32_e32 v23, v67, v17
	s_waitcnt lgkmcnt(2)
	v_lshlrev_b64 v[4:5], 4, v[26:27]
	v_mov_b32_e32 v37, v27
	v_add_nc_u32_e32 v29, v29, v16
	v_add_nc_u32_e32 v15, v70, v15
	v_lshlrev_b64 v[19:20], 4, v[36:37]
	v_add_co_u32 v4, s0, s1, v4
	v_add_co_ci_u32_e64 v5, s0, s4, v5, s0
	v_mov_b32_e32 v36, v27
	v_add_co_u32 v19, s0, s1, v19
	global_load_dwordx4 v[4:7], v[4:5], off
	v_add_co_ci_u32_e64 v20, s0, s4, v20, s0
	v_lshlrev_b64 v[25:26], 4, v[35:36]
	v_mov_b32_e32 v35, v27
	global_load_dwordx4 v[19:22], v[19:20], off
	ds_read_b128 v[0:3], v18
	ds_read_b128 v[8:11], v12 offset:11648
	v_add_co_u32 v25, s0, s1, v25
	v_add_co_ci_u32_e64 v26, s0, s4, v26, s0
	global_load_dwordx4 v[36:39], v[25:26], off
	s_waitcnt lgkmcnt(0)
	v_add_f64 v[25:26], v[0:1], -v[8:9]
	v_add_f64 v[40:41], v[2:3], v[10:11]
	v_add_f64 v[2:3], v[2:3], -v[10:11]
	v_add_f64 v[0:1], v[0:1], v[8:9]
	v_mul_f64 v[10:11], v[25:26], 0.5
	v_mul_f64 v[25:26], v[40:41], 0.5
	;; [unrolled: 1-line block ×3, first 2 shown]
	s_waitcnt vmcnt(2)
	v_mul_f64 v[8:9], v[10:11], v[6:7]
	v_fma_f64 v[40:41], v[25:26], v[6:7], v[2:3]
	v_fma_f64 v[2:3], v[25:26], v[6:7], -v[2:3]
	v_fma_f64 v[6:7], v[0:1], 0.5, v[8:9]
	v_fma_f64 v[0:1], v[0:1], 0.5, -v[8:9]
	v_fma_f64 v[8:9], -v[4:5], v[10:11], v[40:41]
	v_fma_f64 v[2:3], -v[4:5], v[10:11], v[2:3]
	v_lshlrev_b64 v[10:11], 4, v[34:35]
	v_mov_b32_e32 v34, v27
	v_fma_f64 v[6:7], v[25:26], v[4:5], v[6:7]
	v_fma_f64 v[0:1], -v[25:26], v[4:5], v[0:1]
	ds_write_b64 v18, v[8:9] offset:8
	ds_write_b64 v12, v[2:3] offset:11656
	ds_write_b64 v18, v[6:7]
	ds_write_b64 v12, v[0:1] offset:11648
	v_add_co_u32 v8, s0, s1, v10
	v_add_co_ci_u32_e64 v9, s0, s4, v11, s0
	ds_read_b128 v[0:3], v23
	ds_read_b128 v[4:7], v12 offset:10752
	global_load_dwordx4 v[8:11], v[8:9], off
	s_waitcnt lgkmcnt(0)
	v_add_f64 v[17:18], v[0:1], -v[4:5]
	v_add_f64 v[25:26], v[2:3], v[6:7]
	v_add_f64 v[2:3], v[2:3], -v[6:7]
	v_add_f64 v[0:1], v[0:1], v[4:5]
	v_mul_f64 v[6:7], v[17:18], 0.5
	v_mul_f64 v[17:18], v[25:26], 0.5
	;; [unrolled: 1-line block ×3, first 2 shown]
	s_waitcnt vmcnt(2)
	v_mul_f64 v[4:5], v[6:7], v[21:22]
	v_fma_f64 v[25:26], v[17:18], v[21:22], v[2:3]
	v_fma_f64 v[2:3], v[17:18], v[21:22], -v[2:3]
	v_fma_f64 v[21:22], v[0:1], 0.5, v[4:5]
	v_fma_f64 v[0:1], v[0:1], 0.5, -v[4:5]
	v_fma_f64 v[4:5], -v[19:20], v[6:7], v[25:26]
	v_fma_f64 v[2:3], -v[19:20], v[6:7], v[2:3]
	v_fma_f64 v[6:7], v[17:18], v[19:20], v[21:22]
	v_fma_f64 v[0:1], -v[17:18], v[19:20], v[0:1]
	v_lshlrev_b64 v[16:17], 4, v[33:34]
	v_mov_b32_e32 v33, v27
	ds_write_b64 v23, v[4:5] offset:8
	ds_write_b64 v12, v[2:3] offset:10760
	ds_write_b64 v23, v[6:7]
	ds_write_b64 v12, v[0:1] offset:10752
	v_add_co_u32 v16, s0, s1, v16
	v_add_co_ci_u32_e64 v17, s0, s4, v17, s0
	ds_read_b128 v[0:3], v29
	ds_read_b128 v[4:7], v12 offset:9856
	global_load_dwordx4 v[16:19], v[16:17], off
	s_waitcnt lgkmcnt(0)
	v_add_f64 v[20:21], v[0:1], -v[4:5]
	v_add_f64 v[22:23], v[2:3], v[6:7]
	v_add_f64 v[2:3], v[2:3], -v[6:7]
	v_add_f64 v[0:1], v[0:1], v[4:5]
	v_mul_f64 v[6:7], v[20:21], 0.5
	v_mul_f64 v[20:21], v[22:23], 0.5
	;; [unrolled: 1-line block ×3, first 2 shown]
	s_waitcnt vmcnt(2)
	v_mul_f64 v[4:5], v[6:7], v[38:39]
	v_fma_f64 v[22:23], v[20:21], v[38:39], v[2:3]
	v_fma_f64 v[2:3], v[20:21], v[38:39], -v[2:3]
	v_fma_f64 v[25:26], v[0:1], 0.5, v[4:5]
	v_fma_f64 v[0:1], v[0:1], 0.5, -v[4:5]
	v_fma_f64 v[4:5], -v[36:37], v[6:7], v[22:23]
	v_fma_f64 v[2:3], -v[36:37], v[6:7], v[2:3]
	v_fma_f64 v[6:7], v[20:21], v[36:37], v[25:26]
	v_fma_f64 v[0:1], -v[20:21], v[36:37], v[0:1]
	v_lshlrev_b64 v[20:21], 4, v[32:33]
	ds_write_b64 v29, v[4:5] offset:8
	ds_write_b64 v12, v[2:3] offset:9864
	ds_write_b64 v29, v[6:7]
	ds_write_b64 v12, v[0:1] offset:9856
	v_add_co_u32 v20, s0, s1, v20
	v_add_co_ci_u32_e64 v21, s0, s4, v21, s0
	ds_read_b128 v[0:3], v15
	ds_read_b128 v[4:7], v12 offset:8960
	global_load_dwordx4 v[20:23], v[20:21], off
	s_waitcnt lgkmcnt(0)
	v_add_f64 v[25:26], v[0:1], -v[4:5]
	v_add_f64 v[32:33], v[2:3], v[6:7]
	v_add_f64 v[2:3], v[2:3], -v[6:7]
	v_add_f64 v[0:1], v[0:1], v[4:5]
	v_mul_f64 v[6:7], v[25:26], 0.5
	v_mul_f64 v[25:26], v[32:33], 0.5
	;; [unrolled: 1-line block ×3, first 2 shown]
	s_waitcnt vmcnt(2)
	v_mul_f64 v[4:5], v[6:7], v[10:11]
	v_fma_f64 v[32:33], v[25:26], v[10:11], v[2:3]
	v_fma_f64 v[2:3], v[25:26], v[10:11], -v[2:3]
	v_fma_f64 v[10:11], v[0:1], 0.5, v[4:5]
	v_fma_f64 v[0:1], v[0:1], 0.5, -v[4:5]
	v_fma_f64 v[4:5], -v[8:9], v[6:7], v[32:33]
	v_fma_f64 v[2:3], -v[8:9], v[6:7], v[2:3]
	v_fma_f64 v[6:7], v[25:26], v[8:9], v[10:11]
	v_fma_f64 v[0:1], -v[25:26], v[8:9], v[0:1]
	v_add_nc_u32_e32 v25, v68, v14
	ds_write_b64 v15, v[4:5] offset:8
	ds_write_b64 v12, v[2:3] offset:8968
	ds_write_b64 v15, v[6:7]
	ds_write_b64 v12, v[0:1] offset:8960
	ds_read_b128 v[0:3], v25
	ds_read_b128 v[4:7], v12 offset:8064
	s_waitcnt lgkmcnt(0)
	v_add_f64 v[8:9], v[0:1], -v[4:5]
	v_add_f64 v[10:11], v[2:3], v[6:7]
	v_add_f64 v[2:3], v[2:3], -v[6:7]
	v_add_f64 v[0:1], v[0:1], v[4:5]
	v_mul_f64 v[6:7], v[8:9], 0.5
	v_mul_f64 v[8:9], v[10:11], 0.5
	;; [unrolled: 1-line block ×3, first 2 shown]
	s_waitcnt vmcnt(1)
	v_mul_f64 v[4:5], v[6:7], v[18:19]
	v_fma_f64 v[10:11], v[8:9], v[18:19], v[2:3]
	v_fma_f64 v[2:3], v[8:9], v[18:19], -v[2:3]
	v_fma_f64 v[14:15], v[0:1], 0.5, v[4:5]
	v_fma_f64 v[0:1], v[0:1], 0.5, -v[4:5]
	v_fma_f64 v[4:5], -v[16:17], v[6:7], v[10:11]
	v_fma_f64 v[2:3], -v[16:17], v[6:7], v[2:3]
	v_fma_f64 v[6:7], v[8:9], v[16:17], v[14:15]
	v_fma_f64 v[0:1], -v[8:9], v[16:17], v[0:1]
	v_add_nc_u32_e32 v15, v66, v13
	ds_write_b64 v25, v[4:5] offset:8
	ds_write_b64 v12, v[2:3] offset:8072
	ds_write_b64 v25, v[6:7]
	ds_write_b64 v12, v[0:1] offset:8064
	ds_read_b128 v[0:3], v15
	ds_read_b128 v[4:7], v12 offset:7168
	s_waitcnt lgkmcnt(0)
	v_add_f64 v[8:9], v[0:1], -v[4:5]
	v_add_f64 v[10:11], v[2:3], v[6:7]
	v_add_f64 v[2:3], v[2:3], -v[6:7]
	v_add_f64 v[0:1], v[0:1], v[4:5]
	v_mul_f64 v[6:7], v[8:9], 0.5
	v_mul_f64 v[8:9], v[10:11], 0.5
	v_mul_f64 v[2:3], v[2:3], 0.5
	s_waitcnt vmcnt(0)
	v_mul_f64 v[4:5], v[6:7], v[22:23]
	v_fma_f64 v[10:11], v[8:9], v[22:23], v[2:3]
	v_fma_f64 v[2:3], v[8:9], v[22:23], -v[2:3]
	v_fma_f64 v[13:14], v[0:1], 0.5, v[4:5]
	v_fma_f64 v[0:1], v[0:1], 0.5, -v[4:5]
	v_fma_f64 v[4:5], -v[20:21], v[6:7], v[10:11]
	v_fma_f64 v[2:3], -v[20:21], v[6:7], v[2:3]
	v_fma_f64 v[6:7], v[8:9], v[20:21], v[13:14]
	v_fma_f64 v[0:1], -v[8:9], v[20:21], v[0:1]
	ds_write_b64 v15, v[4:5] offset:8
	ds_write_b64 v12, v[2:3] offset:7176
	ds_write_b64 v15, v[6:7]
	ds_write_b64 v12, v[0:1] offset:7168
	s_waitcnt lgkmcnt(0)
	s_barrier
	buffer_gl0_inv
	s_and_saveexec_b32 s0, vcc_lo
	s_cbranch_execz .LBB0_20
; %bb.18:
	v_mov_b32_e32 v25, v27
	ds_read_b128 v[2:5], v65
	ds_read_b128 v[6:9], v65 offset:896
	ds_read_b128 v[10:13], v65 offset:1792
	;; [unrolled: 1-line block ×3, first 2 shown]
	v_add_co_u32 v0, vcc_lo, s2, v30
	v_add_co_ci_u32_e32 v1, vcc_lo, s3, v31, vcc_lo
	v_lshlrev_b64 v[18:19], 4, v[24:25]
	v_mov_b32_e32 v29, v27
	v_lshlrev_b64 v[51:52], 4, v[28:29]
	v_add_co_u32 v22, vcc_lo, v0, v18
	v_add_co_ci_u32_e32 v23, vcc_lo, v1, v19, vcc_lo
	v_add_co_u32 v45, vcc_lo, 0x800, v22
	v_add_co_ci_u32_e32 v46, vcc_lo, 0, v23, vcc_lo
	s_waitcnt lgkmcnt(3)
	global_store_dwordx4 v[22:23], v[2:5], off
	s_waitcnt lgkmcnt(2)
	global_store_dwordx4 v[22:23], v[6:9], off offset:896
	s_waitcnt lgkmcnt(1)
	global_store_dwordx4 v[22:23], v[10:13], off offset:1792
	;; [unrolled: 2-line block ×3, first 2 shown]
	ds_read_b128 v[2:5], v65 offset:3584
	ds_read_b128 v[6:9], v65 offset:4480
	;; [unrolled: 1-line block ×5, first 2 shown]
	v_add_co_u32 v47, vcc_lo, 0x1000, v22
	ds_read_b128 v[25:28], v65 offset:8064
	ds_read_b128 v[29:32], v65 offset:8960
	;; [unrolled: 1-line block ×5, first 2 shown]
	v_add_co_ci_u32_e32 v48, vcc_lo, 0, v23, vcc_lo
	v_add_co_u32 v49, vcc_lo, 0x1800, v22
	v_add_co_ci_u32_e32 v50, vcc_lo, 0, v23, vcc_lo
	v_add_co_u32 v51, vcc_lo, v0, v51
	v_add_co_ci_u32_e32 v52, vcc_lo, v1, v52, vcc_lo
	s_waitcnt lgkmcnt(9)
	global_store_dwordx4 v[45:46], v[2:5], off offset:1536
	s_waitcnt lgkmcnt(8)
	global_store_dwordx4 v[47:48], v[6:9], off offset:384
	;; [unrolled: 2-line block ×4, first 2 shown]
	s_waitcnt lgkmcnt(5)
	global_store_dwordx4 v[51:52], v[18:21], off
	v_add_co_u32 v2, vcc_lo, 0x2000, v22
	v_add_co_ci_u32_e32 v3, vcc_lo, 0, v23, vcc_lo
	v_add_co_u32 v4, vcc_lo, 0x2800, v22
	v_add_co_ci_u32_e32 v5, vcc_lo, 0, v23, vcc_lo
	v_cmp_eq_u32_e32 vcc_lo, 55, v24
	s_waitcnt lgkmcnt(4)
	global_store_dwordx4 v[49:50], v[25:28], off offset:1920
	s_waitcnt lgkmcnt(3)
	global_store_dwordx4 v[2:3], v[29:32], off offset:768
	;; [unrolled: 2-line block ×5, first 2 shown]
	s_and_b32 exec_lo, exec_lo, vcc_lo
	s_cbranch_execz .LBB0_20
; %bb.19:
	v_mov_b32_e32 v2, 0
	v_add_co_u32 v0, vcc_lo, 0x3000, v0
	v_add_co_ci_u32_e32 v1, vcc_lo, 0, v1, vcc_lo
	ds_read_b128 v[2:5], v2 offset:12544
	s_waitcnt lgkmcnt(0)
	global_store_dwordx4 v[0:1], v[2:5], off offset:256
.LBB0_20:
	s_endpgm
	.section	.rodata,"a",@progbits
	.p2align	6, 0x0
	.amdhsa_kernel fft_rtc_back_len784_factors_2_2_2_2_7_7_wgs_56_tpt_56_halfLds_dp_ip_CI_unitstride_sbrr_R2C_dirReg
		.amdhsa_group_segment_fixed_size 0
		.amdhsa_private_segment_fixed_size 0
		.amdhsa_kernarg_size 88
		.amdhsa_user_sgpr_count 6
		.amdhsa_user_sgpr_private_segment_buffer 1
		.amdhsa_user_sgpr_dispatch_ptr 0
		.amdhsa_user_sgpr_queue_ptr 0
		.amdhsa_user_sgpr_kernarg_segment_ptr 1
		.amdhsa_user_sgpr_dispatch_id 0
		.amdhsa_user_sgpr_flat_scratch_init 0
		.amdhsa_user_sgpr_private_segment_size 0
		.amdhsa_wavefront_size32 1
		.amdhsa_uses_dynamic_stack 0
		.amdhsa_system_sgpr_private_segment_wavefront_offset 0
		.amdhsa_system_sgpr_workgroup_id_x 1
		.amdhsa_system_sgpr_workgroup_id_y 0
		.amdhsa_system_sgpr_workgroup_id_z 0
		.amdhsa_system_sgpr_workgroup_info 0
		.amdhsa_system_vgpr_workitem_id 0
		.amdhsa_next_free_vgpr 124
		.amdhsa_next_free_sgpr 26
		.amdhsa_reserve_vcc 1
		.amdhsa_reserve_flat_scratch 0
		.amdhsa_float_round_mode_32 0
		.amdhsa_float_round_mode_16_64 0
		.amdhsa_float_denorm_mode_32 3
		.amdhsa_float_denorm_mode_16_64 3
		.amdhsa_dx10_clamp 1
		.amdhsa_ieee_mode 1
		.amdhsa_fp16_overflow 0
		.amdhsa_workgroup_processor_mode 1
		.amdhsa_memory_ordered 1
		.amdhsa_forward_progress 0
		.amdhsa_shared_vgpr_count 0
		.amdhsa_exception_fp_ieee_invalid_op 0
		.amdhsa_exception_fp_denorm_src 0
		.amdhsa_exception_fp_ieee_div_zero 0
		.amdhsa_exception_fp_ieee_overflow 0
		.amdhsa_exception_fp_ieee_underflow 0
		.amdhsa_exception_fp_ieee_inexact 0
		.amdhsa_exception_int_div_zero 0
	.end_amdhsa_kernel
	.text
.Lfunc_end0:
	.size	fft_rtc_back_len784_factors_2_2_2_2_7_7_wgs_56_tpt_56_halfLds_dp_ip_CI_unitstride_sbrr_R2C_dirReg, .Lfunc_end0-fft_rtc_back_len784_factors_2_2_2_2_7_7_wgs_56_tpt_56_halfLds_dp_ip_CI_unitstride_sbrr_R2C_dirReg
                                        ; -- End function
	.section	.AMDGPU.csdata,"",@progbits
; Kernel info:
; codeLenInByte = 11604
; NumSgprs: 28
; NumVgprs: 124
; ScratchSize: 0
; MemoryBound: 0
; FloatMode: 240
; IeeeMode: 1
; LDSByteSize: 0 bytes/workgroup (compile time only)
; SGPRBlocks: 3
; VGPRBlocks: 15
; NumSGPRsForWavesPerEU: 28
; NumVGPRsForWavesPerEU: 124
; Occupancy: 8
; WaveLimiterHint : 1
; COMPUTE_PGM_RSRC2:SCRATCH_EN: 0
; COMPUTE_PGM_RSRC2:USER_SGPR: 6
; COMPUTE_PGM_RSRC2:TRAP_HANDLER: 0
; COMPUTE_PGM_RSRC2:TGID_X_EN: 1
; COMPUTE_PGM_RSRC2:TGID_Y_EN: 0
; COMPUTE_PGM_RSRC2:TGID_Z_EN: 0
; COMPUTE_PGM_RSRC2:TIDIG_COMP_CNT: 0
	.text
	.p2alignl 6, 3214868480
	.fill 48, 4, 3214868480
	.type	__hip_cuid_bbce1114f946723f,@object ; @__hip_cuid_bbce1114f946723f
	.section	.bss,"aw",@nobits
	.globl	__hip_cuid_bbce1114f946723f
__hip_cuid_bbce1114f946723f:
	.byte	0                               ; 0x0
	.size	__hip_cuid_bbce1114f946723f, 1

	.ident	"AMD clang version 19.0.0git (https://github.com/RadeonOpenCompute/llvm-project roc-6.4.0 25133 c7fe45cf4b819c5991fe208aaa96edf142730f1d)"
	.section	".note.GNU-stack","",@progbits
	.addrsig
	.addrsig_sym __hip_cuid_bbce1114f946723f
	.amdgpu_metadata
---
amdhsa.kernels:
  - .args:
      - .actual_access:  read_only
        .address_space:  global
        .offset:         0
        .size:           8
        .value_kind:     global_buffer
      - .offset:         8
        .size:           8
        .value_kind:     by_value
      - .actual_access:  read_only
        .address_space:  global
        .offset:         16
        .size:           8
        .value_kind:     global_buffer
      - .actual_access:  read_only
        .address_space:  global
        .offset:         24
        .size:           8
        .value_kind:     global_buffer
      - .offset:         32
        .size:           8
        .value_kind:     by_value
      - .actual_access:  read_only
        .address_space:  global
        .offset:         40
        .size:           8
        .value_kind:     global_buffer
      - .actual_access:  read_only
        .address_space:  global
        .offset:         48
        .size:           8
        .value_kind:     global_buffer
      - .offset:         56
        .size:           4
        .value_kind:     by_value
      - .actual_access:  read_only
        .address_space:  global
        .offset:         64
        .size:           8
        .value_kind:     global_buffer
      - .actual_access:  read_only
        .address_space:  global
        .offset:         72
        .size:           8
        .value_kind:     global_buffer
      - .address_space:  global
        .offset:         80
        .size:           8
        .value_kind:     global_buffer
    .group_segment_fixed_size: 0
    .kernarg_segment_align: 8
    .kernarg_segment_size: 88
    .language:       OpenCL C
    .language_version:
      - 2
      - 0
    .max_flat_workgroup_size: 56
    .name:           fft_rtc_back_len784_factors_2_2_2_2_7_7_wgs_56_tpt_56_halfLds_dp_ip_CI_unitstride_sbrr_R2C_dirReg
    .private_segment_fixed_size: 0
    .sgpr_count:     28
    .sgpr_spill_count: 0
    .symbol:         fft_rtc_back_len784_factors_2_2_2_2_7_7_wgs_56_tpt_56_halfLds_dp_ip_CI_unitstride_sbrr_R2C_dirReg.kd
    .uniform_work_group_size: 1
    .uses_dynamic_stack: false
    .vgpr_count:     124
    .vgpr_spill_count: 0
    .wavefront_size: 32
    .workgroup_processor_mode: 1
amdhsa.target:   amdgcn-amd-amdhsa--gfx1030
amdhsa.version:
  - 1
  - 2
...

	.end_amdgpu_metadata
